;; amdgpu-corpus repo=zjin-lcf/HeCBench kind=compiled arch=gfx906 opt=O3
	.amdgcn_target "amdgcn-amd-amdhsa--gfx906"
	.amdhsa_code_object_version 6
	.text
	.protected	_Z13initial_valuejddPd  ; -- Begin function _Z13initial_valuejddPd
	.globl	_Z13initial_valuejddPd
	.p2align	8
	.type	_Z13initial_valuejddPd,@function
_Z13initial_valuejddPd:                 ; @_Z13initial_valuejddPd
; %bb.0:
	s_load_dword s1, s[4:5], 0x2c
	s_load_dword s0, s[4:5], 0x0
	s_waitcnt lgkmcnt(0)
	s_and_b32 s1, s1, 0xffff
	s_mul_i32 s6, s6, s1
	v_add_u32_e32 v0, s6, v0
	s_mul_i32 s1, s0, s0
	v_cmp_gt_u32_e32 vcc, s1, v0
	s_and_saveexec_b64 s[2:3], vcc
	s_cbranch_execz .LBB0_10
; %bb.1:
	v_cvt_f32_u32_e32 v1, s0
	s_sub_i32 s1, 0, s0
	s_load_dwordx4 s[8:11], s[4:5], 0x8
	s_mov_b32 s3, 0x400921fb
	v_rcp_iflag_f32_e32 v1, v1
	s_mov_b32 s2, 0x54442d18
                                        ; implicit-def: $vgpr22
	v_mul_f32_e32 v1, 0x4f7ffffe, v1
	v_cvt_u32_f32_e32 v1, v1
	v_mul_lo_u32 v2, s1, v1
	v_mul_hi_u32 v2, v1, v2
	v_add_u32_e32 v1, v1, v2
	v_mul_hi_u32 v1, v0, v1
	v_mul_lo_u32 v2, v1, s0
	v_add_u32_e32 v3, 1, v1
	v_sub_u32_e32 v2, v0, v2
	v_cmp_le_u32_e32 vcc, s0, v2
	v_cndmask_b32_e32 v1, v1, v3, vcc
	v_subrev_u32_e32 v3, s0, v2
	v_cndmask_b32_e32 v2, v2, v3, vcc
	v_add_u32_e32 v3, 1, v1
	v_cmp_le_u32_e32 vcc, s0, v2
	v_cndmask_b32_e32 v6, v1, v3, vcc
	v_mul_lo_u32 v1, v6, s0
	v_sub_u32_e32 v1, v0, v1
	v_add_u32_e32 v1, 1, v1
	v_cvt_f64_i32_e32 v[1:2], v1
	s_waitcnt lgkmcnt(0)
	v_mul_f64 v[1:2], s[8:9], v[1:2]
	v_mul_f64 v[1:2], v[1:2], s[2:3]
	v_div_scale_f64 v[3:4], s[0:1], s[10:11], s[10:11], v[1:2]
	v_div_scale_f64 v[11:12], vcc, v[1:2], s[10:11], v[1:2]
	s_mov_b32 s0, 0
	s_mov_b32 s1, 0x41d00000
	v_rcp_f64_e32 v[7:8], v[3:4]
	v_fma_f64 v[9:10], -v[3:4], v[7:8], 1.0
	v_fma_f64 v[7:8], v[7:8], v[9:10], v[7:8]
	v_fma_f64 v[9:10], -v[3:4], v[7:8], 1.0
	v_fma_f64 v[7:8], v[7:8], v[9:10], v[7:8]
	v_mul_f64 v[9:10], v[11:12], v[7:8]
	v_fma_f64 v[3:4], -v[3:4], v[9:10], v[11:12]
	v_div_fmas_f64 v[3:4], v[3:4], v[7:8], v[9:10]
                                        ; implicit-def: $vgpr8_vgpr9
	v_div_fixup_f64 v[2:3], v[3:4], s[10:11], v[1:2]
	v_mov_b32_e32 v1, 0
                                        ; implicit-def: $vgpr4_vgpr5
	v_cmp_nlt_f64_e64 s[0:1], |v[2:3]|, s[0:1]
	s_and_saveexec_b64 s[6:7], s[0:1]
	s_xor_b64 s[6:7], exec, s[6:7]
	s_cbranch_execz .LBB0_3
; %bb.2:
	v_trig_preop_f64 v[4:5], |v[2:3]|, 0
	s_mov_b32 s0, 0
	s_mov_b32 s1, 0x7b000000
	s_movk_i32 s3, 0xff80
	v_ldexp_f64 v[9:10], |v[2:3]|, s3
	v_cmp_ge_f64_e64 vcc, |v[2:3]|, s[0:1]
	v_trig_preop_f64 v[7:8], |v[2:3]|, 1
	v_and_b32_e32 v11, 0x7fffffff, v3
	v_trig_preop_f64 v[17:18], |v[2:3]|, 2
	s_mov_b32 s0, 0
	s_mov_b32 s1, 0x7ff00000
	v_mov_b32_e32 v28, 0x40100000
	v_mov_b32_e32 v27, v1
	v_cndmask_b32_e32 v10, v11, v10, vcc
	v_cndmask_b32_e32 v9, v2, v9, vcc
	s_mov_b32 s3, 0x3ff921fb
	v_mul_f64 v[11:12], v[4:5], v[9:10]
	v_mul_f64 v[13:14], v[7:8], v[9:10]
	;; [unrolled: 1-line block ×3, first 2 shown]
	v_fma_f64 v[4:5], v[4:5], v[9:10], -v[11:12]
	v_fma_f64 v[7:8], v[7:8], v[9:10], -v[13:14]
	v_fma_f64 v[9:10], v[17:18], v[9:10], -v[23:24]
	v_add_f64 v[15:16], v[13:14], v[4:5]
	v_add_f64 v[19:20], v[15:16], -v[13:14]
	v_add_f64 v[25:26], v[11:12], v[15:16]
	v_add_f64 v[21:22], v[15:16], -v[19:20]
	v_add_f64 v[4:5], v[4:5], -v[19:20]
	v_add_f64 v[19:20], v[23:24], v[7:8]
	v_add_f64 v[11:12], v[25:26], -v[11:12]
	v_add_f64 v[13:14], v[13:14], -v[21:22]
	v_ldexp_f64 v[21:22], v[25:26], -2
	v_add_f64 v[29:30], v[19:20], -v[23:24]
	v_add_f64 v[11:12], v[15:16], -v[11:12]
	v_add_f64 v[4:5], v[4:5], v[13:14]
	v_fract_f64_e32 v[13:14], v[21:22]
	v_cmp_neq_f64_e64 vcc, |v[21:22]|, s[0:1]
	v_add_f64 v[7:8], v[7:8], -v[29:30]
	v_add_f64 v[15:16], v[19:20], v[4:5]
	v_ldexp_f64 v[13:14], v[13:14], 2
	v_add_f64 v[21:22], v[11:12], v[15:16]
	v_cndmask_b32_e32 v14, 0, v14, vcc
	v_cndmask_b32_e32 v13, 0, v13, vcc
	v_add_f64 v[25:26], v[21:22], v[13:14]
	v_add_f64 v[11:12], v[21:22], -v[11:12]
	v_cmp_gt_f64_e32 vcc, 0, v[25:26]
	v_add_f64 v[25:26], v[15:16], -v[19:20]
	v_add_f64 v[11:12], v[15:16], -v[11:12]
	v_cndmask_b32_e32 v28, 0, v28, vcc
	v_add_f64 v[13:14], v[13:14], v[27:28]
	v_add_f64 v[27:28], v[19:20], -v[29:30]
	v_add_f64 v[31:32], v[15:16], -v[25:26]
	;; [unrolled: 1-line block ×3, first 2 shown]
	v_add_f64 v[29:30], v[21:22], v[13:14]
	v_add_f64 v[27:28], v[23:24], -v[27:28]
	v_add_f64 v[19:20], v[19:20], -v[31:32]
	v_cvt_i32_f64_e32 v29, v[29:30]
	v_add_f64 v[7:8], v[7:8], v[27:28]
	v_add_f64 v[4:5], v[4:5], v[19:20]
	v_cvt_f64_i32_e32 v[25:26], v29
	v_add_f64 v[13:14], v[13:14], -v[25:26]
	v_add_f64 v[4:5], v[7:8], v[4:5]
	v_add_f64 v[7:8], v[21:22], v[13:14]
	;; [unrolled: 1-line block ×3, first 2 shown]
	v_add_f64 v[9:10], v[7:8], -v[13:14]
	v_cmp_le_f64_e32 vcc, 0.5, v[7:8]
	v_add_f64 v[4:5], v[11:12], v[4:5]
	v_mov_b32_e32 v12, 0x3ff00000
	v_mov_b32_e32 v11, v1
	v_add_f64 v[9:10], v[21:22], -v[9:10]
	v_cndmask_b32_e32 v12, 0, v12, vcc
	v_add_f64 v[7:8], v[7:8], -v[11:12]
	v_addc_co_u32_e64 v22, s[0:1], 0, v29, vcc
	s_mov_b32 s0, 0x33145c07
	s_mov_b32 s1, 0x3c91a626
	v_add_f64 v[4:5], v[4:5], v[9:10]
	v_add_f64 v[9:10], v[7:8], v[4:5]
	v_mul_f64 v[11:12], v[9:10], s[2:3]
	v_add_f64 v[7:8], v[9:10], -v[7:8]
	v_fma_f64 v[13:14], v[9:10], s[2:3], -v[11:12]
	v_add_f64 v[4:5], v[4:5], -v[7:8]
	v_fma_f64 v[7:8], v[9:10], s[0:1], v[13:14]
	v_fma_f64 v[7:8], v[4:5], s[2:3], v[7:8]
	v_add_f64 v[4:5], v[11:12], v[7:8]
	v_add_f64 v[9:10], v[4:5], -v[11:12]
	v_add_f64 v[8:9], v[7:8], -v[9:10]
.LBB0_3:
	s_or_saveexec_b64 s[0:1], s[6:7]
	s_load_dwordx2 s[4:5], s[4:5], 0x18
	s_xor_b64 exec, exec, s[0:1]
	s_cbranch_execz .LBB0_5
; %bb.4:
	s_mov_b32 s2, 0x6dc9c883
	s_mov_b32 s3, 0x3fe45f30
	v_mul_f64 v[4:5], |v[2:3]|, s[2:3]
	s_mov_b32 s2, 0x54442d18
	s_mov_b32 s3, 0xbff921fb
	s_mov_b32 s7, 0xbc91a626
	s_mov_b32 s6, 0x33145c00
	v_rndne_f64_e32 v[10:11], v[4:5]
	v_fma_f64 v[4:5], v[10:11], s[2:3], |v[2:3]|
	v_mul_f64 v[7:8], v[10:11], s[6:7]
	s_mov_b32 s2, 0x252049c0
	s_mov_b32 s3, 0xb97b839a
	v_cvt_i32_f64_e32 v22, v[10:11]
	v_fma_f64 v[16:17], v[10:11], s[6:7], v[4:5]
	v_add_f64 v[12:13], v[4:5], v[7:8]
	s_mov_b32 s7, 0x3c91a626
	v_add_f64 v[14:15], v[4:5], -v[12:13]
	v_add_f64 v[12:13], v[12:13], -v[16:17]
	v_add_f64 v[4:5], v[14:15], v[7:8]
	v_fma_f64 v[7:8], v[10:11], s[6:7], v[7:8]
	v_add_f64 v[4:5], v[12:13], v[4:5]
	v_add_f64 v[4:5], v[4:5], -v[7:8]
	v_fma_f64 v[7:8], v[10:11], s[2:3], v[4:5]
	v_add_f64 v[4:5], v[16:17], v[7:8]
	v_add_f64 v[12:13], v[4:5], -v[16:17]
	v_add_f64 v[8:9], v[7:8], -v[12:13]
.LBB0_5:
	s_or_b64 exec, exec, s[0:1]
	v_add_u32_e32 v6, 1, v6
	v_cvt_f64_i32_e32 v[6:7], v6
	s_mov_b32 s1, 0x400921fb
	s_mov_b32 s0, 0x54442d18
                                        ; implicit-def: $vgpr23
	v_mul_f64 v[6:7], s[8:9], v[6:7]
	v_mul_f64 v[6:7], v[6:7], s[0:1]
	v_div_scale_f64 v[10:11], s[2:3], s[10:11], s[10:11], v[6:7]
	v_div_scale_f64 v[16:17], vcc, v[6:7], s[10:11], v[6:7]
	s_mov_b32 s2, 0
	s_mov_b32 s3, 0x41d00000
	v_rcp_f64_e32 v[12:13], v[10:11]
	v_fma_f64 v[14:15], -v[10:11], v[12:13], 1.0
	v_fma_f64 v[12:13], v[12:13], v[14:15], v[12:13]
	v_fma_f64 v[14:15], -v[10:11], v[12:13], 1.0
	v_fma_f64 v[12:13], v[12:13], v[14:15], v[12:13]
	v_mul_f64 v[14:15], v[16:17], v[12:13]
	v_fma_f64 v[10:11], -v[10:11], v[14:15], v[16:17]
	v_div_fmas_f64 v[10:11], v[10:11], v[12:13], v[14:15]
                                        ; implicit-def: $vgpr12_vgpr13
	v_div_fixup_f64 v[6:7], v[10:11], s[10:11], v[6:7]
                                        ; implicit-def: $vgpr10_vgpr11
	v_cmp_nlt_f64_e64 s[2:3], |v[6:7]|, s[2:3]
	s_and_saveexec_b64 s[6:7], s[2:3]
	s_xor_b64 s[2:3], exec, s[6:7]
	s_cbranch_execz .LBB0_7
; %bb.6:
	v_trig_preop_f64 v[10:11], |v[6:7]|, 0
	s_mov_b32 s6, 0
	s_mov_b32 s7, 0x7b000000
	s_movk_i32 s1, 0xff80
	v_ldexp_f64 v[12:13], |v[6:7]|, s1
	v_cmp_ge_f64_e64 vcc, |v[6:7]|, s[6:7]
	v_trig_preop_f64 v[14:15], |v[6:7]|, 1
	v_and_b32_e32 v16, 0x7fffffff, v7
	v_trig_preop_f64 v[20:21], |v[6:7]|, 2
	s_mov_b32 s6, 0
	s_mov_b32 s7, 0x7ff00000
	;; [unrolled: 1-line block ×3, first 2 shown]
	v_cndmask_b32_e32 v13, v16, v13, vcc
	v_cndmask_b32_e32 v12, v6, v12, vcc
	v_mul_f64 v[16:17], v[10:11], v[12:13]
	v_mul_f64 v[18:19], v[14:15], v[12:13]
	;; [unrolled: 1-line block ×3, first 2 shown]
	v_fma_f64 v[10:11], v[10:11], v[12:13], -v[16:17]
	v_fma_f64 v[14:15], v[14:15], v[12:13], -v[18:19]
	v_add_f64 v[23:24], v[18:19], v[10:11]
	v_add_f64 v[25:26], v[23:24], -v[18:19]
	v_add_f64 v[29:30], v[10:11], -v[25:26]
	;; [unrolled: 1-line block ×3, first 2 shown]
	v_add_f64 v[25:26], v[27:28], v[14:15]
	v_add_f64 v[18:19], v[18:19], -v[10:11]
	v_fma_f64 v[10:11], v[20:21], v[12:13], -v[27:28]
	v_add_f64 v[12:13], v[16:17], v[23:24]
	v_add_f64 v[20:21], v[25:26], -v[27:28]
	v_add_f64 v[18:19], v[29:30], v[18:19]
	v_mov_b32_e32 v29, 0x40100000
	v_add_f64 v[16:17], v[12:13], -v[16:17]
	v_ldexp_f64 v[12:13], v[12:13], -2
	v_add_f64 v[14:15], v[14:15], -v[20:21]
	v_add_f64 v[20:21], v[25:26], -v[20:21]
	;; [unrolled: 1-line block ×3, first 2 shown]
	v_fract_f64_e32 v[23:24], v[12:13]
	v_cmp_neq_f64_e64 vcc, |v[12:13]|, s[6:7]
	v_add_f64 v[20:21], v[27:28], -v[20:21]
	v_add_f64 v[27:28], v[25:26], v[18:19]
	s_mov_b32 s6, 0x33145c07
	s_mov_b32 s7, 0x3c91a626
	v_ldexp_f64 v[12:13], v[23:24], 2
	v_add_f64 v[14:15], v[14:15], v[20:21]
	v_add_f64 v[23:24], v[16:17], v[27:28]
	v_cndmask_b32_e32 v13, 0, v13, vcc
	v_cndmask_b32_e32 v12, 0, v12, vcc
	v_add_f64 v[20:21], v[23:24], v[12:13]
	v_add_f64 v[16:17], v[23:24], -v[16:17]
	v_cmp_gt_f64_e32 vcc, 0, v[20:21]
	v_add_f64 v[20:21], v[27:28], -v[25:26]
	v_add_f64 v[16:17], v[27:28], -v[16:17]
	;; [unrolled: 1-line block ×5, first 2 shown]
	v_mov_b32_e32 v25, 0
	v_cndmask_b32_e32 v26, 0, v29, vcc
	v_add_f64 v[12:13], v[12:13], v[25:26]
	v_add_f64 v[18:19], v[18:19], v[20:21]
	;; [unrolled: 1-line block ×4, first 2 shown]
	v_cvt_i32_f64_e32 v29, v[29:30]
	v_cvt_f64_i32_e32 v[20:21], v29
	v_add_f64 v[10:11], v[10:11], v[14:15]
	v_mov_b32_e32 v14, 0x3ff00000
	v_add_f64 v[12:13], v[12:13], -v[20:21]
	v_add_f64 v[10:11], v[16:17], v[10:11]
	v_add_f64 v[18:19], v[23:24], v[12:13]
	v_add_f64 v[12:13], v[18:19], -v[12:13]
	v_cmp_le_f64_e32 vcc, 0.5, v[18:19]
	v_add_f64 v[12:13], v[23:24], -v[12:13]
	v_cndmask_b32_e32 v26, 0, v14, vcc
	v_addc_co_u32_e32 v23, vcc, 0, v29, vcc
	v_add_f64 v[10:11], v[10:11], v[12:13]
	v_add_f64 v[12:13], v[18:19], -v[25:26]
	v_add_f64 v[14:15], v[12:13], v[10:11]
	v_mul_f64 v[16:17], v[14:15], s[0:1]
	v_add_f64 v[12:13], v[14:15], -v[12:13]
	v_fma_f64 v[18:19], v[14:15], s[0:1], -v[16:17]
	v_add_f64 v[10:11], v[10:11], -v[12:13]
	v_fma_f64 v[12:13], v[14:15], s[6:7], v[18:19]
	v_fma_f64 v[12:13], v[10:11], s[0:1], v[12:13]
	v_add_f64 v[10:11], v[16:17], v[12:13]
	v_add_f64 v[14:15], v[10:11], -v[16:17]
	v_add_f64 v[12:13], v[12:13], -v[14:15]
.LBB0_7:
	s_andn2_saveexec_b64 s[0:1], s[2:3]
	s_cbranch_execz .LBB0_9
; %bb.8:
	s_mov_b32 s2, 0x6dc9c883
	s_mov_b32 s3, 0x3fe45f30
	v_mul_f64 v[10:11], |v[6:7]|, s[2:3]
	s_mov_b32 s2, 0x54442d18
	s_mov_b32 s3, 0xbff921fb
	s_mov_b32 s7, 0xbc91a626
	s_mov_b32 s6, 0x33145c00
	v_rndne_f64_e32 v[14:15], v[10:11]
	v_fma_f64 v[10:11], v[14:15], s[2:3], |v[6:7]|
	v_mul_f64 v[12:13], v[14:15], s[6:7]
	s_mov_b32 s2, 0x252049c0
	s_mov_b32 s3, 0xb97b839a
	v_cvt_i32_f64_e32 v23, v[14:15]
	v_fma_f64 v[20:21], v[14:15], s[6:7], v[10:11]
	v_add_f64 v[16:17], v[10:11], v[12:13]
	s_mov_b32 s7, 0x3c91a626
	v_add_f64 v[18:19], v[10:11], -v[16:17]
	v_add_f64 v[16:17], v[16:17], -v[20:21]
	v_add_f64 v[10:11], v[18:19], v[12:13]
	v_fma_f64 v[12:13], v[14:15], s[6:7], v[12:13]
	v_add_f64 v[10:11], v[16:17], v[10:11]
	v_add_f64 v[10:11], v[10:11], -v[12:13]
	v_fma_f64 v[12:13], v[14:15], s[2:3], v[10:11]
	v_add_f64 v[10:11], v[20:21], v[12:13]
	v_add_f64 v[16:17], v[10:11], -v[20:21]
	v_add_f64 v[12:13], v[12:13], -v[16:17]
.LBB0_9:
	s_or_b64 exec, exec, s[0:1]
	v_mul_f64 v[18:19], v[4:5], v[4:5]
	s_mov_b32 s2, 0x9037ab78
	s_mov_b32 s3, 0x3e21eeb6
	;; [unrolled: 1-line block ×3, first 2 shown]
	v_mov_b32_e32 v15, s3
	s_mov_b32 s1, 0xbda907db
	v_mov_b32_e32 v14, s2
	s_mov_b32 s2, 0xa17f65f6
	v_fma_f64 v[16:17], v[18:19], s[0:1], v[14:15]
	v_mul_f64 v[24:25], v[18:19], 0.5
	s_mov_b32 s3, 0xbe927e4f
	s_mov_b32 s6, 0x19f4ec90
	;; [unrolled: 1-line block ×6, first 2 shown]
	v_fma_f64 v[20:21], v[18:19], v[16:17], s[2:3]
	v_add_f64 v[16:17], -v[24:25], 1.0
	s_mov_b32 s9, 0x3de5e0b2
	s_mov_b32 s14, 0x796cde01
	;; [unrolled: 1-line block ×6, first 2 shown]
	v_fma_f64 v[26:27], v[18:19], v[20:21], s[6:7]
	v_mov_b32_e32 v21, s11
	v_mov_b32_e32 v20, s10
	v_add_f64 v[28:29], -v[16:17], 1.0
	v_fma_f64 v[30:31], v[18:19], s[8:9], v[20:21]
	s_mov_b32 s10, 0x16c16967
	s_mov_b32 s11, 0xbf56c16c
	;; [unrolled: 1-line block ×3, first 2 shown]
	v_fma_f64 v[26:27], v[18:19], v[26:27], s[10:11]
	s_mov_b32 s18, 0x11110bb3
	s_mov_b32 s19, 0x3f811111
	v_add_f64 v[24:25], v[28:29], -v[24:25]
	v_fma_f64 v[28:29], v[18:19], v[30:31], s[14:15]
	v_mul_f64 v[30:31], v[18:19], v[18:19]
	v_lshlrev_b64 v[0:1], 3, v[0:1]
	v_fma_f64 v[26:27], v[18:19], v[26:27], s[12:13]
	v_fma_f64 v[24:25], v[4:5], -v[8:9], v[24:25]
	v_fma_f64 v[28:29], v[18:19], v[28:29], s[16:17]
	v_fma_f64 v[24:25], v[30:31], v[26:27], v[24:25]
	v_mul_f64 v[26:27], v[8:9], 0.5
	v_mul_f64 v[30:31], v[4:5], -v[18:19]
	v_fma_f64 v[28:29], v[18:19], v[28:29], s[18:19]
	v_add_f64 v[16:17], v[16:17], v[24:25]
	v_fma_f64 v[26:27], v[30:31], v[28:29], v[26:27]
	v_mul_f64 v[28:29], v[10:11], v[10:11]
	v_fma_f64 v[8:9], v[18:19], v[26:27], -v[8:9]
	v_mul_f64 v[18:19], v[28:29], 0.5
	v_fma_f64 v[20:21], v[28:29], s[8:9], v[20:21]
	v_fma_f64 v[14:15], v[28:29], s[0:1], v[14:15]
	s_mov_b32 s9, 0xbfc55555
	s_mov_b32 s8, s12
	v_fma_f64 v[8:9], v[30:31], s[8:9], v[8:9]
	v_add_f64 v[26:27], -v[18:19], 1.0
	v_fma_f64 v[20:21], v[28:29], v[20:21], s[14:15]
	v_fma_f64 v[14:15], v[28:29], v[14:15], s[2:3]
	v_mul_f64 v[30:31], v[10:11], -v[28:29]
	s_movk_i32 s2, 0x1f8
	v_add_f64 v[4:5], v[4:5], -v[8:9]
	v_add_f64 v[32:33], -v[26:27], 1.0
	v_fma_f64 v[20:21], v[28:29], v[20:21], s[16:17]
	v_fma_f64 v[14:15], v[28:29], v[14:15], s[6:7]
	v_add_f64 v[18:19], v[32:33], -v[18:19]
	v_fma_f64 v[20:21], v[28:29], v[20:21], s[18:19]
	v_mul_f64 v[32:33], v[12:13], 0.5
	v_fma_f64 v[14:15], v[28:29], v[14:15], s[10:11]
	v_fma_f64 v[20:21], v[30:31], v[20:21], v[32:33]
	;; [unrolled: 1-line block ×3, first 2 shown]
	v_fma_f64 v[20:21], v[28:29], v[20:21], -v[12:13]
	v_mul_f64 v[28:29], v[28:29], v[28:29]
	v_fma_f64 v[12:13], v[10:11], -v[12:13], v[18:19]
	v_and_b32_e32 v18, 1, v22
	v_cmp_eq_u32_e32 vcc, 0, v18
	v_fma_f64 v[8:9], v[28:29], v[14:15], v[12:13]
	v_fma_f64 v[12:13], v[30:31], s[8:9], v[20:21]
	v_cndmask_b32_e32 v14, v16, v4, vcc
	v_lshlrev_b32_e32 v4, 30, v22
	v_xor_b32_e32 v4, v4, v3
	v_cndmask_b32_e32 v15, v17, v5, vcc
	v_and_b32_e32 v16, 0x80000000, v4
	v_cmp_class_f64_e64 vcc, v[2:3], s2
	v_add_f64 v[4:5], v[26:27], v[8:9]
	v_add_f64 v[8:9], v[10:11], -v[12:13]
	v_cmp_class_f64_e64 s[2:3], v[6:7], s2
	v_and_b32_e32 v11, 1, v23
	v_lshlrev_b32_e32 v6, 30, v23
	v_cmp_eq_u32_e64 s[0:1], 0, v11
	v_xor_b32_e32 v6, v6, v7
	v_and_b32_e32 v6, 0x80000000, v6
	v_xor_b32_e32 v3, v15, v16
	v_cndmask_b32_e64 v5, v5, v9, s[0:1]
	v_mov_b32_e32 v10, 0x7ff80000
	v_cndmask_b32_e64 v4, v4, v8, s[0:1]
	v_xor_b32_e32 v5, v5, v6
	v_cndmask_b32_e32 v2, 0, v14, vcc
	v_cndmask_b32_e32 v3, v10, v3, vcc
	v_cndmask_b32_e64 v4, 0, v4, s[2:3]
	v_cndmask_b32_e64 v5, v10, v5, s[2:3]
	v_mul_f64 v[2:3], v[2:3], v[4:5]
	s_waitcnt lgkmcnt(0)
	v_mov_b32_e32 v4, s5
	v_add_co_u32_e32 v0, vcc, s4, v0
	v_addc_co_u32_e32 v1, vcc, v4, v1, vcc
	global_store_dwordx2 v[0:1], v[2:3], off
.LBB0_10:
	s_endpgm
	.section	.rodata,"a",@progbits
	.p2align	6, 0x0
	.amdhsa_kernel _Z13initial_valuejddPd
		.amdhsa_group_segment_fixed_size 0
		.amdhsa_private_segment_fixed_size 0
		.amdhsa_kernarg_size 288
		.amdhsa_user_sgpr_count 6
		.amdhsa_user_sgpr_private_segment_buffer 1
		.amdhsa_user_sgpr_dispatch_ptr 0
		.amdhsa_user_sgpr_queue_ptr 0
		.amdhsa_user_sgpr_kernarg_segment_ptr 1
		.amdhsa_user_sgpr_dispatch_id 0
		.amdhsa_user_sgpr_flat_scratch_init 0
		.amdhsa_user_sgpr_private_segment_size 0
		.amdhsa_uses_dynamic_stack 0
		.amdhsa_system_sgpr_private_segment_wavefront_offset 0
		.amdhsa_system_sgpr_workgroup_id_x 1
		.amdhsa_system_sgpr_workgroup_id_y 0
		.amdhsa_system_sgpr_workgroup_id_z 0
		.amdhsa_system_sgpr_workgroup_info 0
		.amdhsa_system_vgpr_workitem_id 0
		.amdhsa_next_free_vgpr 34
		.amdhsa_next_free_sgpr 20
		.amdhsa_reserve_vcc 1
		.amdhsa_reserve_flat_scratch 0
		.amdhsa_float_round_mode_32 0
		.amdhsa_float_round_mode_16_64 0
		.amdhsa_float_denorm_mode_32 3
		.amdhsa_float_denorm_mode_16_64 3
		.amdhsa_dx10_clamp 1
		.amdhsa_ieee_mode 1
		.amdhsa_fp16_overflow 0
		.amdhsa_exception_fp_ieee_invalid_op 0
		.amdhsa_exception_fp_denorm_src 0
		.amdhsa_exception_fp_ieee_div_zero 0
		.amdhsa_exception_fp_ieee_overflow 0
		.amdhsa_exception_fp_ieee_underflow 0
		.amdhsa_exception_fp_ieee_inexact 0
		.amdhsa_exception_int_div_zero 0
	.end_amdhsa_kernel
	.text
.Lfunc_end0:
	.size	_Z13initial_valuejddPd, .Lfunc_end0-_Z13initial_valuejddPd
                                        ; -- End function
	.set _Z13initial_valuejddPd.num_vgpr, 34
	.set _Z13initial_valuejddPd.num_agpr, 0
	.set _Z13initial_valuejddPd.numbered_sgpr, 20
	.set _Z13initial_valuejddPd.num_named_barrier, 0
	.set _Z13initial_valuejddPd.private_seg_size, 0
	.set _Z13initial_valuejddPd.uses_vcc, 1
	.set _Z13initial_valuejddPd.uses_flat_scratch, 0
	.set _Z13initial_valuejddPd.has_dyn_sized_stack, 0
	.set _Z13initial_valuejddPd.has_recursion, 0
	.set _Z13initial_valuejddPd.has_indirect_call, 0
	.section	.AMDGPU.csdata,"",@progbits
; Kernel info:
; codeLenInByte = 2916
; TotalNumSgprs: 24
; NumVgprs: 34
; ScratchSize: 0
; MemoryBound: 0
; FloatMode: 240
; IeeeMode: 1
; LDSByteSize: 0 bytes/workgroup (compile time only)
; SGPRBlocks: 2
; VGPRBlocks: 8
; NumSGPRsForWavesPerEU: 24
; NumVGPRsForWavesPerEU: 34
; Occupancy: 7
; WaveLimiterHint : 0
; COMPUTE_PGM_RSRC2:SCRATCH_EN: 0
; COMPUTE_PGM_RSRC2:USER_SGPR: 6
; COMPUTE_PGM_RSRC2:TRAP_HANDLER: 0
; COMPUTE_PGM_RSRC2:TGID_X_EN: 1
; COMPUTE_PGM_RSRC2:TGID_Y_EN: 0
; COMPUTE_PGM_RSRC2:TGID_Z_EN: 0
; COMPUTE_PGM_RSRC2:TIDIG_COMP_CNT: 0
	.text
	.protected	_Z4zerojPd              ; -- Begin function _Z4zerojPd
	.globl	_Z4zerojPd
	.p2align	8
	.type	_Z4zerojPd,@function
_Z4zerojPd:                             ; @_Z4zerojPd
; %bb.0:
	s_load_dword s0, s[4:5], 0x1c
	s_load_dword s1, s[4:5], 0x0
	s_waitcnt lgkmcnt(0)
	s_and_b32 s0, s0, 0xffff
	s_mul_i32 s6, s6, s0
	v_add_u32_e32 v0, s6, v0
	s_mul_i32 s1, s1, s1
	v_cmp_gt_u32_e32 vcc, s1, v0
	s_and_saveexec_b64 s[0:1], vcc
	s_cbranch_execz .LBB1_2
; %bb.1:
	s_load_dwordx2 s[0:1], s[4:5], 0x8
	v_ashrrev_i32_e32 v1, 31, v0
	v_lshlrev_b64 v[0:1], 3, v[0:1]
	s_waitcnt lgkmcnt(0)
	v_mov_b32_e32 v2, s1
	v_add_co_u32_e32 v0, vcc, s0, v0
	v_addc_co_u32_e32 v1, vcc, v2, v1, vcc
	v_mov_b32_e32 v2, 0
	v_mov_b32_e32 v3, v2
	global_store_dwordx2 v[0:1], v[2:3], off
.LBB1_2:
	s_endpgm
	.section	.rodata,"a",@progbits
	.p2align	6, 0x0
	.amdhsa_kernel _Z4zerojPd
		.amdhsa_group_segment_fixed_size 0
		.amdhsa_private_segment_fixed_size 0
		.amdhsa_kernarg_size 272
		.amdhsa_user_sgpr_count 6
		.amdhsa_user_sgpr_private_segment_buffer 1
		.amdhsa_user_sgpr_dispatch_ptr 0
		.amdhsa_user_sgpr_queue_ptr 0
		.amdhsa_user_sgpr_kernarg_segment_ptr 1
		.amdhsa_user_sgpr_dispatch_id 0
		.amdhsa_user_sgpr_flat_scratch_init 0
		.amdhsa_user_sgpr_private_segment_size 0
		.amdhsa_uses_dynamic_stack 0
		.amdhsa_system_sgpr_private_segment_wavefront_offset 0
		.amdhsa_system_sgpr_workgroup_id_x 1
		.amdhsa_system_sgpr_workgroup_id_y 0
		.amdhsa_system_sgpr_workgroup_id_z 0
		.amdhsa_system_sgpr_workgroup_info 0
		.amdhsa_system_vgpr_workitem_id 0
		.amdhsa_next_free_vgpr 4
		.amdhsa_next_free_sgpr 7
		.amdhsa_reserve_vcc 1
		.amdhsa_reserve_flat_scratch 0
		.amdhsa_float_round_mode_32 0
		.amdhsa_float_round_mode_16_64 0
		.amdhsa_float_denorm_mode_32 3
		.amdhsa_float_denorm_mode_16_64 3
		.amdhsa_dx10_clamp 1
		.amdhsa_ieee_mode 1
		.amdhsa_fp16_overflow 0
		.amdhsa_exception_fp_ieee_invalid_op 0
		.amdhsa_exception_fp_denorm_src 0
		.amdhsa_exception_fp_ieee_div_zero 0
		.amdhsa_exception_fp_ieee_overflow 0
		.amdhsa_exception_fp_ieee_underflow 0
		.amdhsa_exception_fp_ieee_inexact 0
		.amdhsa_exception_int_div_zero 0
	.end_amdhsa_kernel
	.text
.Lfunc_end1:
	.size	_Z4zerojPd, .Lfunc_end1-_Z4zerojPd
                                        ; -- End function
	.set _Z4zerojPd.num_vgpr, 4
	.set _Z4zerojPd.num_agpr, 0
	.set _Z4zerojPd.numbered_sgpr, 7
	.set _Z4zerojPd.num_named_barrier, 0
	.set _Z4zerojPd.private_seg_size, 0
	.set _Z4zerojPd.uses_vcc, 1
	.set _Z4zerojPd.uses_flat_scratch, 0
	.set _Z4zerojPd.has_dyn_sized_stack, 0
	.set _Z4zerojPd.has_recursion, 0
	.set _Z4zerojPd.has_indirect_call, 0
	.section	.AMDGPU.csdata,"",@progbits
; Kernel info:
; codeLenInByte = 108
; TotalNumSgprs: 11
; NumVgprs: 4
; ScratchSize: 0
; MemoryBound: 0
; FloatMode: 240
; IeeeMode: 1
; LDSByteSize: 0 bytes/workgroup (compile time only)
; SGPRBlocks: 1
; VGPRBlocks: 0
; NumSGPRsForWavesPerEU: 11
; NumVGPRsForWavesPerEU: 4
; Occupancy: 10
; WaveLimiterHint : 0
; COMPUTE_PGM_RSRC2:SCRATCH_EN: 0
; COMPUTE_PGM_RSRC2:USER_SGPR: 6
; COMPUTE_PGM_RSRC2:TRAP_HANDLER: 0
; COMPUTE_PGM_RSRC2:TGID_X_EN: 1
; COMPUTE_PGM_RSRC2:TGID_Y_EN: 0
; COMPUTE_PGM_RSRC2:TGID_Z_EN: 0
; COMPUTE_PGM_RSRC2:TIDIG_COMP_CNT: 0
	.text
	.protected	_Z5solvejdddddPdS_      ; -- Begin function _Z5solvejdddddPdS_
	.globl	_Z5solvejdddddPdS_
	.p2align	8
	.type	_Z5solvejdddddPdS_,@function
_Z5solvejdddddPdS_:                     ; @_Z5solvejdddddPdS_
; %bb.0:
	s_load_dword s0, s[4:5], 0x4c
	s_load_dword s8, s[4:5], 0x0
	s_waitcnt lgkmcnt(0)
	s_and_b32 s0, s0, 0xffff
	s_mul_i32 s6, s6, s0
	v_add_u32_e32 v4, s6, v0
	s_mul_i32 s0, s8, s8
	v_cmp_gt_u32_e32 vcc, s0, v4
	s_and_saveexec_b64 s[0:1], vcc
	s_cbranch_execz .LBB2_10
; %bb.1:
	s_load_dwordx2 s[0:1], s[4:5], 0x30
	v_mov_b32_e32 v5, 0
	v_lshlrev_b64 v[0:1], 3, v[4:5]
	v_cvt_f32_u32_e32 v6, s8
	s_sub_i32 s2, 0, s8
	s_waitcnt lgkmcnt(0)
	v_mov_b32_e32 v3, s1
	v_add_co_u32_e32 v2, vcc, s0, v0
	v_addc_co_u32_e32 v3, vcc, v3, v1, vcc
	global_load_dwordx2 v[2:3], v[2:3], off
	v_rcp_iflag_f32_e32 v6, v6
	s_add_i32 s6, s8, -1
	v_mul_f32_e32 v6, 0x4f7ffffe, v6
	v_cvt_u32_f32_e32 v6, v6
	v_mul_lo_u32 v7, s2, v6
	v_mul_hi_u32 v7, v6, v7
	v_add_u32_e32 v6, v6, v7
	v_mul_hi_u32 v6, v4, v6
	v_mul_lo_u32 v7, v6, s8
	v_add_u32_e32 v8, 1, v6
	v_sub_u32_e32 v7, v4, v7
	v_cmp_le_u32_e32 vcc, s8, v7
	v_cndmask_b32_e32 v6, v6, v8, vcc
	v_subrev_u32_e32 v8, s8, v7
	v_cndmask_b32_e32 v7, v7, v8, vcc
	v_add_u32_e32 v8, 1, v6
	v_cmp_le_u32_e32 vcc, s8, v7
	v_cndmask_b32_e32 v14, v6, v8, vcc
	v_mul_lo_u32 v12, v14, s8
	v_mov_b32_e32 v6, 0
	v_mov_b32_e32 v8, 0
	;; [unrolled: 1-line block ×3, first 2 shown]
	v_sub_u32_e32 v13, v4, v12
	v_mov_b32_e32 v9, 0
	v_cmp_gt_u32_e32 vcc, s6, v13
	s_and_saveexec_b64 s[2:3], vcc
	s_cbranch_execz .LBB2_3
; %bb.2:
	v_add_u32_e32 v8, 1, v4
	v_mov_b32_e32 v9, v5
	v_lshlrev_b64 v[8:9], 3, v[8:9]
	v_mov_b32_e32 v5, s1
	v_add_co_u32_e32 v8, vcc, s0, v8
	v_addc_co_u32_e32 v9, vcc, v5, v9, vcc
	global_load_dwordx2 v[8:9], v[8:9], off
.LBB2_3:
	s_or_b64 exec, exec, s[2:3]
	v_cmp_lt_i32_e32 vcc, 0, v13
	s_and_saveexec_b64 s[2:3], vcc
	s_cbranch_execz .LBB2_5
; %bb.4:
	v_add_u32_e32 v4, -1, v4
	v_mov_b32_e32 v5, 0
	v_lshlrev_b64 v[4:5], 3, v[4:5]
	v_mov_b32_e32 v6, s1
	v_add_co_u32_e32 v4, vcc, s0, v4
	v_addc_co_u32_e32 v5, vcc, v6, v5, vcc
	global_load_dwordx2 v[6:7], v[4:5], off
.LBB2_5:
	s_or_b64 exec, exec, s[2:3]
	s_load_dwordx2 s[2:3], s[4:5], 0x38
	v_mov_b32_e32 v4, 0
	v_mov_b32_e32 v10, 0
	;; [unrolled: 1-line block ×4, first 2 shown]
	v_cmp_gt_u32_e32 vcc, s6, v14
	s_and_saveexec_b64 s[6:7], vcc
	s_cbranch_execz .LBB2_7
; %bb.6:
	v_add3_u32 v10, v12, s8, v13
	v_mov_b32_e32 v11, 0
	v_lshlrev_b64 v[10:11], 3, v[10:11]
	v_mov_b32_e32 v15, s1
	v_add_co_u32_e32 v10, vcc, s0, v10
	v_addc_co_u32_e32 v11, vcc, v15, v11, vcc
	global_load_dwordx2 v[10:11], v[10:11], off
.LBB2_7:
	s_or_b64 exec, exec, s[6:7]
	v_cmp_lt_i32_e32 vcc, 0, v14
	s_and_saveexec_b64 s[6:7], vcc
	s_cbranch_execz .LBB2_9
; %bb.8:
	v_subrev_u32_e32 v4, s8, v12
	v_add_u32_e32 v4, v4, v13
	v_mov_b32_e32 v5, 0
	v_lshlrev_b64 v[4:5], 3, v[4:5]
	v_mov_b32_e32 v12, s1
	v_add_co_u32_e32 v4, vcc, s0, v4
	v_addc_co_u32_e32 v5, vcc, v12, v5, vcc
	global_load_dwordx2 v[4:5], v[4:5], off
.LBB2_9:
	s_or_b64 exec, exec, s[6:7]
	s_load_dwordx4 s[4:7], s[4:5], 0x20
	s_waitcnt lgkmcnt(0)
	v_add_co_u32_e32 v0, vcc, s2, v0
	s_waitcnt vmcnt(0)
	v_mul_f64 v[8:9], s[4:5], v[8:9]
	v_fma_f64 v[2:3], s[6:7], v[2:3], v[8:9]
	v_fma_f64 v[2:3], s[4:5], v[6:7], v[2:3]
	;; [unrolled: 1-line block ×4, first 2 shown]
	v_mov_b32_e32 v4, s3
	v_addc_co_u32_e32 v1, vcc, v4, v1, vcc
	global_store_dwordx2 v[0:1], v[2:3], off
.LBB2_10:
	s_endpgm
	.section	.rodata,"a",@progbits
	.p2align	6, 0x0
	.amdhsa_kernel _Z5solvejdddddPdS_
		.amdhsa_group_segment_fixed_size 0
		.amdhsa_private_segment_fixed_size 0
		.amdhsa_kernarg_size 320
		.amdhsa_user_sgpr_count 6
		.amdhsa_user_sgpr_private_segment_buffer 1
		.amdhsa_user_sgpr_dispatch_ptr 0
		.amdhsa_user_sgpr_queue_ptr 0
		.amdhsa_user_sgpr_kernarg_segment_ptr 1
		.amdhsa_user_sgpr_dispatch_id 0
		.amdhsa_user_sgpr_flat_scratch_init 0
		.amdhsa_user_sgpr_private_segment_size 0
		.amdhsa_uses_dynamic_stack 0
		.amdhsa_system_sgpr_private_segment_wavefront_offset 0
		.amdhsa_system_sgpr_workgroup_id_x 1
		.amdhsa_system_sgpr_workgroup_id_y 0
		.amdhsa_system_sgpr_workgroup_id_z 0
		.amdhsa_system_sgpr_workgroup_info 0
		.amdhsa_system_vgpr_workitem_id 0
		.amdhsa_next_free_vgpr 16
		.amdhsa_next_free_sgpr 9
		.amdhsa_reserve_vcc 1
		.amdhsa_reserve_flat_scratch 0
		.amdhsa_float_round_mode_32 0
		.amdhsa_float_round_mode_16_64 0
		.amdhsa_float_denorm_mode_32 3
		.amdhsa_float_denorm_mode_16_64 3
		.amdhsa_dx10_clamp 1
		.amdhsa_ieee_mode 1
		.amdhsa_fp16_overflow 0
		.amdhsa_exception_fp_ieee_invalid_op 0
		.amdhsa_exception_fp_denorm_src 0
		.amdhsa_exception_fp_ieee_div_zero 0
		.amdhsa_exception_fp_ieee_overflow 0
		.amdhsa_exception_fp_ieee_underflow 0
		.amdhsa_exception_fp_ieee_inexact 0
		.amdhsa_exception_int_div_zero 0
	.end_amdhsa_kernel
	.text
.Lfunc_end2:
	.size	_Z5solvejdddddPdS_, .Lfunc_end2-_Z5solvejdddddPdS_
                                        ; -- End function
	.set _Z5solvejdddddPdS_.num_vgpr, 16
	.set _Z5solvejdddddPdS_.num_agpr, 0
	.set _Z5solvejdddddPdS_.numbered_sgpr, 9
	.set _Z5solvejdddddPdS_.num_named_barrier, 0
	.set _Z5solvejdddddPdS_.private_seg_size, 0
	.set _Z5solvejdddddPdS_.uses_vcc, 1
	.set _Z5solvejdddddPdS_.uses_flat_scratch, 0
	.set _Z5solvejdddddPdS_.has_dyn_sized_stack, 0
	.set _Z5solvejdddddPdS_.has_recursion, 0
	.set _Z5solvejdddddPdS_.has_indirect_call, 0
	.section	.AMDGPU.csdata,"",@progbits
; Kernel info:
; codeLenInByte = 544
; TotalNumSgprs: 13
; NumVgprs: 16
; ScratchSize: 0
; MemoryBound: 0
; FloatMode: 240
; IeeeMode: 1
; LDSByteSize: 0 bytes/workgroup (compile time only)
; SGPRBlocks: 1
; VGPRBlocks: 3
; NumSGPRsForWavesPerEU: 13
; NumVGPRsForWavesPerEU: 16
; Occupancy: 10
; WaveLimiterHint : 0
; COMPUTE_PGM_RSRC2:SCRATCH_EN: 0
; COMPUTE_PGM_RSRC2:USER_SGPR: 6
; COMPUTE_PGM_RSRC2:TRAP_HANDLER: 0
; COMPUTE_PGM_RSRC2:TGID_X_EN: 1
; COMPUTE_PGM_RSRC2:TGID_Y_EN: 0
; COMPUTE_PGM_RSRC2:TGID_Z_EN: 0
; COMPUTE_PGM_RSRC2:TIDIG_COMP_CNT: 0
	.section	.AMDGPU.gpr_maximums,"",@progbits
	.set amdgpu.max_num_vgpr, 0
	.set amdgpu.max_num_agpr, 0
	.set amdgpu.max_num_sgpr, 0
	.section	.AMDGPU.csdata,"",@progbits
	.type	__hip_cuid_ecbcb9491960e0e5,@object ; @__hip_cuid_ecbcb9491960e0e5
	.section	.bss,"aw",@nobits
	.globl	__hip_cuid_ecbcb9491960e0e5
__hip_cuid_ecbcb9491960e0e5:
	.byte	0                               ; 0x0
	.size	__hip_cuid_ecbcb9491960e0e5, 1

	.ident	"AMD clang version 22.0.0git (https://github.com/RadeonOpenCompute/llvm-project roc-7.2.4 26084 f58b06dce1f9c15707c5f808fd002e18c2accf7e)"
	.section	".note.GNU-stack","",@progbits
	.addrsig
	.addrsig_sym __hip_cuid_ecbcb9491960e0e5
	.amdgpu_metadata
---
amdhsa.kernels:
  - .args:
      - .offset:         0
        .size:           4
        .value_kind:     by_value
      - .offset:         8
        .size:           8
        .value_kind:     by_value
      - .offset:         16
        .size:           8
        .value_kind:     by_value
      - .address_space:  global
        .offset:         24
        .size:           8
        .value_kind:     global_buffer
      - .offset:         32
        .size:           4
        .value_kind:     hidden_block_count_x
      - .offset:         36
        .size:           4
        .value_kind:     hidden_block_count_y
      - .offset:         40
        .size:           4
        .value_kind:     hidden_block_count_z
      - .offset:         44
        .size:           2
        .value_kind:     hidden_group_size_x
      - .offset:         46
        .size:           2
        .value_kind:     hidden_group_size_y
      - .offset:         48
        .size:           2
        .value_kind:     hidden_group_size_z
      - .offset:         50
        .size:           2
        .value_kind:     hidden_remainder_x
      - .offset:         52
        .size:           2
        .value_kind:     hidden_remainder_y
      - .offset:         54
        .size:           2
        .value_kind:     hidden_remainder_z
      - .offset:         72
        .size:           8
        .value_kind:     hidden_global_offset_x
      - .offset:         80
        .size:           8
        .value_kind:     hidden_global_offset_y
      - .offset:         88
        .size:           8
        .value_kind:     hidden_global_offset_z
      - .offset:         96
        .size:           2
        .value_kind:     hidden_grid_dims
    .group_segment_fixed_size: 0
    .kernarg_segment_align: 8
    .kernarg_segment_size: 288
    .language:       OpenCL C
    .language_version:
      - 2
      - 0
    .max_flat_workgroup_size: 1024
    .name:           _Z13initial_valuejddPd
    .private_segment_fixed_size: 0
    .sgpr_count:     24
    .sgpr_spill_count: 0
    .symbol:         _Z13initial_valuejddPd.kd
    .uniform_work_group_size: 1
    .uses_dynamic_stack: false
    .vgpr_count:     34
    .vgpr_spill_count: 0
    .wavefront_size: 64
  - .args:
      - .offset:         0
        .size:           4
        .value_kind:     by_value
      - .address_space:  global
        .offset:         8
        .size:           8
        .value_kind:     global_buffer
      - .offset:         16
        .size:           4
        .value_kind:     hidden_block_count_x
      - .offset:         20
        .size:           4
        .value_kind:     hidden_block_count_y
      - .offset:         24
        .size:           4
        .value_kind:     hidden_block_count_z
      - .offset:         28
        .size:           2
        .value_kind:     hidden_group_size_x
      - .offset:         30
        .size:           2
        .value_kind:     hidden_group_size_y
      - .offset:         32
        .size:           2
        .value_kind:     hidden_group_size_z
      - .offset:         34
        .size:           2
        .value_kind:     hidden_remainder_x
      - .offset:         36
        .size:           2
        .value_kind:     hidden_remainder_y
      - .offset:         38
        .size:           2
        .value_kind:     hidden_remainder_z
      - .offset:         56
        .size:           8
        .value_kind:     hidden_global_offset_x
      - .offset:         64
        .size:           8
        .value_kind:     hidden_global_offset_y
      - .offset:         72
        .size:           8
        .value_kind:     hidden_global_offset_z
      - .offset:         80
        .size:           2
        .value_kind:     hidden_grid_dims
    .group_segment_fixed_size: 0
    .kernarg_segment_align: 8
    .kernarg_segment_size: 272
    .language:       OpenCL C
    .language_version:
      - 2
      - 0
    .max_flat_workgroup_size: 1024
    .name:           _Z4zerojPd
    .private_segment_fixed_size: 0
    .sgpr_count:     11
    .sgpr_spill_count: 0
    .symbol:         _Z4zerojPd.kd
    .uniform_work_group_size: 1
    .uses_dynamic_stack: false
    .vgpr_count:     4
    .vgpr_spill_count: 0
    .wavefront_size: 64
  - .args:
      - .offset:         0
        .size:           4
        .value_kind:     by_value
      - .offset:         8
        .size:           8
        .value_kind:     by_value
      - .offset:         16
        .size:           8
        .value_kind:     by_value
      - .offset:         24
        .size:           8
        .value_kind:     by_value
      - .offset:         32
        .size:           8
        .value_kind:     by_value
      - .offset:         40
        .size:           8
        .value_kind:     by_value
      - .actual_access:  read_only
        .address_space:  global
        .offset:         48
        .size:           8
        .value_kind:     global_buffer
      - .actual_access:  write_only
        .address_space:  global
        .offset:         56
        .size:           8
        .value_kind:     global_buffer
      - .offset:         64
        .size:           4
        .value_kind:     hidden_block_count_x
      - .offset:         68
        .size:           4
        .value_kind:     hidden_block_count_y
      - .offset:         72
        .size:           4
        .value_kind:     hidden_block_count_z
      - .offset:         76
        .size:           2
        .value_kind:     hidden_group_size_x
      - .offset:         78
        .size:           2
        .value_kind:     hidden_group_size_y
      - .offset:         80
        .size:           2
        .value_kind:     hidden_group_size_z
      - .offset:         82
        .size:           2
        .value_kind:     hidden_remainder_x
      - .offset:         84
        .size:           2
        .value_kind:     hidden_remainder_y
      - .offset:         86
        .size:           2
        .value_kind:     hidden_remainder_z
      - .offset:         104
        .size:           8
        .value_kind:     hidden_global_offset_x
      - .offset:         112
        .size:           8
        .value_kind:     hidden_global_offset_y
      - .offset:         120
        .size:           8
        .value_kind:     hidden_global_offset_z
      - .offset:         128
        .size:           2
        .value_kind:     hidden_grid_dims
    .group_segment_fixed_size: 0
    .kernarg_segment_align: 8
    .kernarg_segment_size: 320
    .language:       OpenCL C
    .language_version:
      - 2
      - 0
    .max_flat_workgroup_size: 1024
    .name:           _Z5solvejdddddPdS_
    .private_segment_fixed_size: 0
    .sgpr_count:     13
    .sgpr_spill_count: 0
    .symbol:         _Z5solvejdddddPdS_.kd
    .uniform_work_group_size: 1
    .uses_dynamic_stack: false
    .vgpr_count:     16
    .vgpr_spill_count: 0
    .wavefront_size: 64
amdhsa.target:   amdgcn-amd-amdhsa--gfx906
amdhsa.version:
  - 1
  - 2
...

	.end_amdgpu_metadata
